;; amdgpu-corpus repo=ROCm/rocFFT kind=compiled arch=gfx1030 opt=O3
	.text
	.amdgcn_target "amdgcn-amd-amdhsa--gfx1030"
	.amdhsa_code_object_version 6
	.protected	fft_rtc_back_len168_factors_7_6_4_wgs_252_tpt_42_halfLds_half_ip_CI_sbcc_twdbase5_3step_dirReg ; -- Begin function fft_rtc_back_len168_factors_7_6_4_wgs_252_tpt_42_halfLds_half_ip_CI_sbcc_twdbase5_3step_dirReg
	.globl	fft_rtc_back_len168_factors_7_6_4_wgs_252_tpt_42_halfLds_half_ip_CI_sbcc_twdbase5_3step_dirReg
	.p2align	8
	.type	fft_rtc_back_len168_factors_7_6_4_wgs_252_tpt_42_halfLds_half_ip_CI_sbcc_twdbase5_3step_dirReg,@function
fft_rtc_back_len168_factors_7_6_4_wgs_252_tpt_42_halfLds_half_ip_CI_sbcc_twdbase5_3step_dirReg: ; @fft_rtc_back_len168_factors_7_6_4_wgs_252_tpt_42_halfLds_half_ip_CI_sbcc_twdbase5_3step_dirReg
; %bb.0:
	s_load_dwordx8 s[8:15], s[4:5], 0x8
	s_mov_b32 s0, exec_lo
	v_cmpx_gt_u32_e32 0x60, v0
	s_cbranch_execz .LBB0_2
; %bb.1:
	v_lshlrev_b32_e32 v1, 2, v0
	s_waitcnt lgkmcnt(0)
	global_load_dword v2, v1, s[8:9]
	v_add_nc_u32_e32 v1, 0, v1
	s_waitcnt vmcnt(0)
	ds_write_b32 v1, v2 offset:2016
.LBB0_2:
	s_or_b32 exec_lo, exec_lo, s0
	s_waitcnt lgkmcnt(0)
	s_load_dwordx2 s[8:9], s[12:13], 0x8
	s_waitcnt lgkmcnt(0)
	s_add_u32 s0, s8, -1
	s_addc_u32 s1, s9, -1
	s_add_u32 s2, 0, 0xaaa80000
	s_addc_u32 s3, 0, 0xaa
	s_mul_hi_u32 s16, s2, -6
	s_add_i32 s3, s3, 0x2aaaaa00
	s_sub_i32 s16, s16, s2
	s_mul_i32 s18, s3, -6
	s_mul_i32 s7, s2, -6
	s_add_i32 s16, s16, s18
	s_mul_hi_u32 s17, s2, s7
	s_mul_i32 s20, s2, s16
	s_mul_hi_u32 s18, s2, s16
	s_mul_hi_u32 s19, s3, s7
	s_mul_i32 s7, s3, s7
	s_add_u32 s17, s17, s20
	s_addc_u32 s18, 0, s18
	s_mul_hi_u32 s21, s3, s16
	s_add_u32 s7, s17, s7
	s_mul_i32 s16, s3, s16
	s_addc_u32 s7, s18, s19
	s_addc_u32 s17, s21, 0
	s_add_u32 s7, s7, s16
	v_add_co_u32 v1, s2, s2, s7
	s_addc_u32 s7, 0, s17
	s_cmp_lg_u32 s2, 0
	s_addc_u32 s2, s3, s7
	v_readfirstlane_b32 s3, v1
	s_mul_i32 s16, s0, s2
	s_mul_hi_u32 s7, s0, s2
	s_mul_hi_u32 s17, s1, s2
	s_mul_i32 s2, s1, s2
	s_mul_hi_u32 s18, s0, s3
	s_mul_hi_u32 s19, s1, s3
	s_mul_i32 s3, s1, s3
	s_add_u32 s16, s18, s16
	s_addc_u32 s7, 0, s7
	s_add_u32 s3, s16, s3
	s_addc_u32 s3, s7, s19
	s_addc_u32 s7, s17, 0
	s_add_u32 s2, s3, s2
	s_addc_u32 s3, 0, s7
	s_mul_i32 s16, s2, 6
	s_add_u32 s7, s2, 1
	v_sub_co_u32 v1, s0, s0, s16
	s_mul_hi_u32 s16, s2, 6
	s_addc_u32 s17, s3, 0
	s_mul_i32 s18, s3, 6
	v_sub_co_u32 v2, s19, v1, 6
	s_add_u32 s20, s2, 2
	s_addc_u32 s21, s3, 0
	s_add_i32 s16, s16, s18
	s_cmp_lg_u32 s0, 0
	v_readfirstlane_b32 s0, v2
	s_subb_u32 s1, s1, s16
	s_cmp_lg_u32 s19, 0
	s_subb_u32 s16, s1, 0
	s_cmp_gt_u32 s0, 5
	s_cselect_b32 s0, -1, 0
	s_cmp_eq_u32 s16, 0
	v_readfirstlane_b32 s16, v1
	s_cselect_b32 s0, s0, -1
	s_cmp_lg_u32 s0, 0
	s_cselect_b32 s0, s20, s7
	s_cselect_b32 s17, s21, s17
	s_cmp_gt_u32 s16, 5
	s_mov_b64 s[20:21], 0
	s_cselect_b32 s7, -1, 0
	s_cmp_eq_u32 s1, 0
	s_cselect_b32 s1, s7, -1
	s_mov_b32 s7, 0
	s_cmp_lg_u32 s1, 0
	s_cselect_b32 s0, s0, s2
	s_cselect_b32 s1, s17, s3
	s_add_u32 s0, s0, 1
	s_addc_u32 s1, s1, 0
	v_cmp_lt_u64_e64 s2, s[6:7], s[0:1]
	s_and_b32 vcc_lo, exec_lo, s2
	s_cbranch_vccnz .LBB0_4
; %bb.3:
	v_cvt_f32_u32_e32 v1, s0
	s_sub_i32 s3, 0, s0
	s_mov_b32 s21, s7
	v_rcp_iflag_f32_e32 v1, v1
	v_mul_f32_e32 v1, 0x4f7ffffe, v1
	v_cvt_u32_f32_e32 v1, v1
	v_readfirstlane_b32 s2, v1
	s_mul_i32 s3, s3, s2
	s_mul_hi_u32 s3, s2, s3
	s_add_i32 s2, s2, s3
	s_mul_hi_u32 s2, s6, s2
	s_mul_i32 s3, s2, s0
	s_add_i32 s16, s2, 1
	s_sub_i32 s3, s6, s3
	s_sub_i32 s17, s3, s0
	s_cmp_ge_u32 s3, s0
	s_cselect_b32 s2, s16, s2
	s_cselect_b32 s3, s17, s3
	s_add_i32 s16, s2, 1
	s_cmp_ge_u32 s3, s0
	s_cselect_b32 s20, s16, s2
.LBB0_4:
	s_load_dwordx4 s[16:19], s[14:15], 0x0
	s_clause 0x1
	s_load_dwordx2 s[2:3], s[4:5], 0x58
	s_load_dwordx2 s[4:5], s[4:5], 0x0
	s_mul_i32 s22, s20, s1
	s_mul_hi_u32 s23, s20, s0
	s_mul_i32 s24, s20, s0
	s_add_i32 s23, s23, s22
	s_sub_u32 s34, s6, s24
	s_subb_u32 s22, 0, s23
	s_mul_hi_u32 s33, s34, 6
	s_mul_i32 s22, s22, 6
	v_cmp_lt_u64_e64 s25, s[10:11], 3
	s_mul_i32 s34, s34, 6
	s_add_i32 s33, s33, s22
	s_and_b32 vcc_lo, exec_lo, s25
	s_waitcnt lgkmcnt(0)
	s_mul_i32 s22, s18, s33
	s_mul_hi_u32 s23, s18, s34
	s_mul_i32 s24, s19, s34
	s_add_i32 s22, s23, s22
	s_mul_i32 s35, s18, s34
	s_add_i32 s36, s22, s24
	s_cbranch_vccnz .LBB0_14
; %bb.5:
	s_add_u32 s22, s14, 16
	s_addc_u32 s23, s15, 0
	s_add_u32 s12, s12, 16
	s_addc_u32 s13, s13, 0
	s_mov_b64 s[24:25], 2
	s_mov_b32 s26, 0
.LBB0_6:                                ; =>This Inner Loop Header: Depth=1
	s_load_dwordx2 s[28:29], s[12:13], 0x0
	s_waitcnt lgkmcnt(0)
	s_or_b64 s[30:31], s[20:21], s[28:29]
	s_mov_b32 s27, s31
                                        ; implicit-def: $sgpr30_sgpr31
	s_cmp_lg_u64 s[26:27], 0
	s_mov_b32 s27, -1
	s_cbranch_scc0 .LBB0_8
; %bb.7:                                ;   in Loop: Header=BB0_6 Depth=1
	v_cvt_f32_u32_e32 v1, s28
	v_cvt_f32_u32_e32 v2, s29
	s_sub_u32 s31, 0, s28
	s_subb_u32 s37, 0, s29
	v_fmac_f32_e32 v1, 0x4f800000, v2
	v_rcp_f32_e32 v1, v1
	v_mul_f32_e32 v1, 0x5f7ffffc, v1
	v_mul_f32_e32 v2, 0x2f800000, v1
	v_trunc_f32_e32 v2, v2
	v_fmac_f32_e32 v1, 0xcf800000, v2
	v_cvt_u32_f32_e32 v2, v2
	v_cvt_u32_f32_e32 v1, v1
	v_readfirstlane_b32 s27, v2
	v_readfirstlane_b32 s30, v1
	s_mul_i32 s38, s31, s27
	s_mul_hi_u32 s40, s31, s30
	s_mul_i32 s39, s37, s30
	s_add_i32 s38, s40, s38
	s_mul_i32 s41, s31, s30
	s_add_i32 s38, s38, s39
	s_mul_hi_u32 s40, s30, s41
	s_mul_hi_u32 s42, s27, s41
	s_mul_i32 s39, s27, s41
	s_mul_hi_u32 s41, s30, s38
	s_mul_i32 s30, s30, s38
	s_mul_hi_u32 s43, s27, s38
	s_add_u32 s30, s40, s30
	s_addc_u32 s40, 0, s41
	s_add_u32 s30, s30, s39
	s_mul_i32 s38, s27, s38
	s_addc_u32 s30, s40, s42
	s_addc_u32 s39, s43, 0
	s_add_u32 s30, s30, s38
	s_addc_u32 s38, 0, s39
	v_add_co_u32 v1, s30, v1, s30
	s_cmp_lg_u32 s30, 0
	s_addc_u32 s27, s27, s38
	v_readfirstlane_b32 s30, v1
	s_mul_i32 s38, s31, s27
	s_mul_hi_u32 s39, s31, s30
	s_mul_i32 s37, s37, s30
	s_add_i32 s38, s39, s38
	s_mul_i32 s31, s31, s30
	s_add_i32 s38, s38, s37
	s_mul_hi_u32 s39, s27, s31
	s_mul_i32 s40, s27, s31
	s_mul_hi_u32 s31, s30, s31
	s_mul_hi_u32 s41, s30, s38
	s_mul_i32 s30, s30, s38
	s_mul_hi_u32 s37, s27, s38
	s_add_u32 s30, s31, s30
	s_addc_u32 s31, 0, s41
	s_add_u32 s30, s30, s40
	s_mul_i32 s38, s27, s38
	s_addc_u32 s30, s31, s39
	s_addc_u32 s31, s37, 0
	s_add_u32 s30, s30, s38
	s_addc_u32 s31, 0, s31
	v_add_co_u32 v1, s30, v1, s30
	s_cmp_lg_u32 s30, 0
	s_addc_u32 s27, s27, s31
	v_readfirstlane_b32 s30, v1
	s_mul_i32 s37, s20, s27
	s_mul_hi_u32 s31, s20, s27
	s_mul_hi_u32 s38, s21, s27
	s_mul_i32 s27, s21, s27
	s_mul_hi_u32 s39, s20, s30
	s_mul_hi_u32 s40, s21, s30
	s_mul_i32 s30, s21, s30
	s_add_u32 s37, s39, s37
	s_addc_u32 s31, 0, s31
	s_add_u32 s30, s37, s30
	s_addc_u32 s30, s31, s40
	s_addc_u32 s31, s38, 0
	s_add_u32 s30, s30, s27
	s_addc_u32 s31, 0, s31
	s_mul_hi_u32 s27, s28, s30
	s_mul_i32 s38, s28, s31
	s_mul_i32 s39, s28, s30
	s_add_i32 s27, s27, s38
	v_sub_co_u32 v1, s38, s20, s39
	s_mul_i32 s37, s29, s30
	s_add_i32 s27, s27, s37
	v_sub_co_u32 v2, s39, v1, s28
	s_sub_i32 s37, s21, s27
	s_cmp_lg_u32 s38, 0
	s_subb_u32 s37, s37, s29
	s_cmp_lg_u32 s39, 0
	v_readfirstlane_b32 s39, v2
	s_subb_u32 s37, s37, 0
	s_cmp_ge_u32 s37, s29
	s_cselect_b32 s40, -1, 0
	s_cmp_ge_u32 s39, s28
	s_cselect_b32 s39, -1, 0
	s_cmp_eq_u32 s37, s29
	s_cselect_b32 s37, s39, s40
	s_add_u32 s39, s30, 1
	s_addc_u32 s40, s31, 0
	s_add_u32 s41, s30, 2
	s_addc_u32 s42, s31, 0
	s_cmp_lg_u32 s37, 0
	s_cselect_b32 s37, s41, s39
	s_cselect_b32 s39, s42, s40
	s_cmp_lg_u32 s38, 0
	v_readfirstlane_b32 s38, v1
	s_subb_u32 s27, s21, s27
	s_cmp_ge_u32 s27, s29
	s_cselect_b32 s40, -1, 0
	s_cmp_ge_u32 s38, s28
	s_cselect_b32 s38, -1, 0
	s_cmp_eq_u32 s27, s29
	s_cselect_b32 s27, s38, s40
	s_cmp_lg_u32 s27, 0
	s_mov_b32 s27, 0
	s_cselect_b32 s31, s39, s31
	s_cselect_b32 s30, s37, s30
.LBB0_8:                                ;   in Loop: Header=BB0_6 Depth=1
	s_andn2_b32 vcc_lo, exec_lo, s27
	s_cbranch_vccnz .LBB0_10
; %bb.9:                                ;   in Loop: Header=BB0_6 Depth=1
	v_cvt_f32_u32_e32 v1, s28
	s_sub_i32 s30, 0, s28
	v_rcp_iflag_f32_e32 v1, v1
	v_mul_f32_e32 v1, 0x4f7ffffe, v1
	v_cvt_u32_f32_e32 v1, v1
	v_readfirstlane_b32 s27, v1
	s_mul_i32 s30, s30, s27
	s_mul_hi_u32 s30, s27, s30
	s_add_i32 s27, s27, s30
	s_mul_hi_u32 s27, s20, s27
	s_mul_i32 s30, s27, s28
	s_add_i32 s31, s27, 1
	s_sub_i32 s30, s20, s30
	s_sub_i32 s37, s30, s28
	s_cmp_ge_u32 s30, s28
	s_cselect_b32 s27, s31, s27
	s_cselect_b32 s30, s37, s30
	s_add_i32 s31, s27, 1
	s_cmp_ge_u32 s30, s28
	s_cselect_b32 s30, s31, s27
	s_mov_b32 s31, s26
.LBB0_10:                               ;   in Loop: Header=BB0_6 Depth=1
	s_load_dwordx2 s[38:39], s[22:23], 0x0
	s_mul_i32 s1, s28, s1
	s_mul_hi_u32 s27, s28, s0
	s_mul_i32 s37, s29, s0
	s_mul_i32 s29, s30, s29
	s_mul_hi_u32 s40, s30, s28
	s_mul_i32 s41, s31, s28
	s_add_i32 s1, s27, s1
	s_add_i32 s27, s40, s29
	s_mul_i32 s42, s30, s28
	s_add_i32 s1, s1, s37
	s_add_i32 s27, s27, s41
	s_sub_u32 s20, s20, s42
	s_subb_u32 s21, s21, s27
	s_mul_i32 s0, s28, s0
	s_waitcnt lgkmcnt(0)
	s_mul_i32 s21, s38, s21
	s_mul_hi_u32 s27, s38, s20
	s_add_i32 s21, s27, s21
	s_mul_i32 s27, s39, s20
	s_mul_i32 s20, s38, s20
	s_add_i32 s21, s21, s27
	s_add_u32 s35, s20, s35
	s_addc_u32 s36, s21, s36
	s_add_u32 s24, s24, 1
	s_addc_u32 s25, s25, 0
	s_add_u32 s22, s22, 8
	v_cmp_ge_u64_e64 s20, s[24:25], s[10:11]
	s_addc_u32 s23, s23, 0
	s_add_u32 s12, s12, 8
	s_addc_u32 s13, s13, 0
	s_and_b32 vcc_lo, exec_lo, s20
	s_cbranch_vccnz .LBB0_12
; %bb.11:                               ;   in Loop: Header=BB0_6 Depth=1
	s_mov_b64 s[20:21], s[30:31]
	s_branch .LBB0_6
.LBB0_12:
	v_cmp_lt_u64_e64 s1, s[6:7], s[0:1]
	s_mov_b64 s[20:21], 0
	s_and_b32 vcc_lo, exec_lo, s1
	s_cbranch_vccnz .LBB0_14
; %bb.13:
	v_cvt_f32_u32_e32 v1, s0
	s_sub_i32 s7, 0, s0
	v_rcp_iflag_f32_e32 v1, v1
	v_mul_f32_e32 v1, 0x4f7ffffe, v1
	v_cvt_u32_f32_e32 v1, v1
	v_readfirstlane_b32 s1, v1
	s_mul_i32 s7, s7, s1
	s_mul_hi_u32 s7, s1, s7
	s_add_i32 s1, s1, s7
	s_mul_hi_u32 s1, s6, s1
	s_mul_i32 s7, s1, s0
	s_sub_i32 s6, s6, s7
	s_add_i32 s7, s1, 1
	s_sub_i32 s12, s6, s0
	s_cmp_ge_u32 s6, s0
	s_cselect_b32 s1, s7, s1
	s_cselect_b32 s6, s12, s6
	s_add_i32 s7, s1, 1
	s_cmp_ge_u32 s6, s0
	s_cselect_b32 s20, s7, s1
.LBB0_14:
	s_lshl_b64 s[0:1], s[10:11], 3
	v_mul_hi_u32 v4, 0x2aaaaaab, v0
	s_add_u32 s0, s14, s0
	s_addc_u32 s1, s15, s1
                                        ; implicit-def: $vgpr11
                                        ; implicit-def: $vgpr12
                                        ; implicit-def: $vgpr15
                                        ; implicit-def: $vgpr16
                                        ; implicit-def: $vgpr17
                                        ; implicit-def: $vgpr18
                                        ; implicit-def: $vgpr19
	s_load_dwordx2 s[6:7], s[0:1], 0x0
	v_cmp_gt_u32_e64 s0, 0x90, v0
	v_mul_u32_u24_e32 v1, 6, v4
	v_add_nc_u32_e32 v8, 24, v4
	v_add_nc_u32_e32 v9, 48, v4
	;; [unrolled: 1-line block ×4, first 2 shown]
	v_sub_nc_u32_e32 v3, v0, v1
	v_add_nc_u32_e32 v6, 0x78, v4
	v_add_nc_u32_e32 v5, 0x90, v4
	s_waitcnt lgkmcnt(0)
	s_mul_i32 s1, s7, s20
	s_mul_hi_u32 s7, s6, s20
	s_mul_i32 s6, s6, s20
	s_add_i32 s7, s7, s1
	s_add_u32 s6, s6, s35
	s_addc_u32 s7, s7, s36
	s_add_u32 s10, s34, 6
	s_addc_u32 s11, s33, 0
	v_cmp_le_u64_e64 s10, s[10:11], s[8:9]
	s_and_b32 s11, s0, s10
	s_and_saveexec_b32 s1, s11
	s_cbranch_execz .LBB0_16
; %bb.15:
	v_mad_u64_u32 v[1:2], null, s18, v3, 0
	v_mad_u64_u32 v[11:12], null, s16, v4, 0
	;; [unrolled: 1-line block ×5, first 2 shown]
	s_lshl_b64 s[12:13], s[6:7], 2
	v_mad_u64_u32 v[18:19], null, s16, v10, 0
	v_mad_u64_u32 v[20:21], null, s17, v4, v[12:13]
	;; [unrolled: 1-line block ×3, first 2 shown]
	v_mov_b32_e32 v2, v17
	s_add_u32 s11, s2, s12
	v_mad_u64_u32 v[21:22], null, s16, v7, 0
	v_mov_b32_e32 v12, v20
	v_lshlrev_b64 v[1:2], 2, v[1:2]
	s_addc_u32 s12, s3, s13
	v_mov_b32_e32 v14, v23
	v_mad_u64_u32 v[23:24], null, s16, v6, 0
	v_lshlrev_b64 v[11:12], 2, v[11:12]
	v_add_co_u32 v28, vcc_lo, s11, v1
	v_add_co_ci_u32_e32 v29, vcc_lo, s12, v2, vcc_lo
	v_mad_u64_u32 v[16:17], null, s17, v9, v[16:17]
	v_add_co_u32 v1, vcc_lo, v28, v11
	v_add_co_ci_u32_e32 v2, vcc_lo, v29, v12, vcc_lo
	v_lshlrev_b64 v[12:13], 2, v[13:14]
	v_mov_b32_e32 v14, v22
	v_mov_b32_e32 v11, v19
	v_mad_u64_u32 v[25:26], null, s17, v7, v[14:15]
	v_mad_u64_u32 v[26:27], null, s16, v5, 0
	;; [unrolled: 1-line block ×3, first 2 shown]
	v_add_co_u32 v12, vcc_lo, v28, v12
	v_mov_b32_e32 v11, v24
	v_lshlrev_b64 v[14:15], 2, v[15:16]
	v_mov_b32_e32 v22, v25
	v_add_co_ci_u32_e32 v13, vcc_lo, v29, v13, vcc_lo
	v_mad_u64_u32 v[16:17], null, s17, v6, v[11:12]
	v_mov_b32_e32 v11, v27
	v_lshlrev_b64 v[17:18], 2, v[18:19]
	v_add_co_u32 v14, vcc_lo, v28, v14
	v_add_co_ci_u32_e32 v15, vcc_lo, v29, v15, vcc_lo
	v_mad_u64_u32 v[19:20], null, s17, v5, v[11:12]
	v_lshlrev_b64 v[20:21], 2, v[21:22]
	v_mov_b32_e32 v24, v16
	v_add_co_u32 v16, vcc_lo, v28, v17
	v_add_co_ci_u32_e32 v17, vcc_lo, v29, v18, vcc_lo
	v_mov_b32_e32 v27, v19
	v_lshlrev_b64 v[22:23], 2, v[23:24]
	v_add_co_u32 v18, vcc_lo, v28, v20
	v_add_co_ci_u32_e32 v19, vcc_lo, v29, v21, vcc_lo
	v_lshlrev_b64 v[20:21], 2, v[26:27]
	v_add_co_u32 v22, vcc_lo, v28, v22
	v_add_co_ci_u32_e32 v23, vcc_lo, v29, v23, vcc_lo
	v_add_co_u32 v20, vcc_lo, v28, v20
	v_add_co_ci_u32_e32 v21, vcc_lo, v29, v21, vcc_lo
	s_clause 0x6
	global_load_dword v11, v[1:2], off
	global_load_dword v12, v[12:13], off
	global_load_dword v15, v[14:15], off
	global_load_dword v16, v[16:17], off
	global_load_dword v17, v[18:19], off
	global_load_dword v19, v[22:23], off
	global_load_dword v18, v[20:21], off
.LBB0_16:
	s_or_b32 exec_lo, exec_lo, s1
	v_add_co_u32 v1, s1, s34, v3
	v_add_co_ci_u32_e64 v2, null, s33, 0, s1
	s_xor_b32 s1, s10, -1
	v_cmp_gt_u64_e32 vcc_lo, s[8:9], v[1:2]
	s_and_b32 s8, s0, vcc_lo
	s_and_b32 s1, s1, s8
	s_and_saveexec_b32 s8, s1
	s_cbranch_execz .LBB0_18
; %bb.17:
	s_waitcnt vmcnt(5)
	v_mad_u64_u32 v[11:12], null, s18, v3, 0
	v_mad_u64_u32 v[13:14], null, s16, v4, 0
	s_waitcnt vmcnt(3)
	v_mad_u64_u32 v[15:16], null, s16, v8, 0
	s_waitcnt vmcnt(0)
	v_mad_u64_u32 v[17:18], null, s16, v9, 0
	v_mov_b32_e32 v2, v12
	s_lshl_b64 s[12:13], s[6:7], 2
	v_mov_b32_e32 v12, v14
	s_add_u32 s1, s2, s12
	s_addc_u32 s9, s3, s13
	v_mad_u64_u32 v[19:20], null, s19, v3, v[2:3]
	v_mad_u64_u32 v[22:23], null, s17, v4, v[12:13]
	v_mov_b32_e32 v2, v16
	v_mad_u64_u32 v[20:21], null, s16, v10, 0
	v_mov_b32_e32 v16, v18
	v_mov_b32_e32 v12, v19
	v_mad_u64_u32 v[18:19], null, s17, v8, v[2:3]
	v_mov_b32_e32 v14, v22
	v_mad_u64_u32 v[23:24], null, s16, v7, 0
	v_lshlrev_b64 v[11:12], 2, v[11:12]
	v_mad_u64_u32 v[8:9], null, s17, v9, v[16:17]
	v_lshlrev_b64 v[13:14], 2, v[13:14]
	v_mov_b32_e32 v2, v21
	v_mov_b32_e32 v16, v18
	v_add_co_u32 v22, s1, s1, v11
	v_add_co_ci_u32_e64 v27, s1, s9, v12, s1
	v_mad_u64_u32 v[9:10], null, s17, v10, v[2:3]
	v_add_co_u32 v11, s1, v22, v13
	v_add_co_ci_u32_e64 v12, s1, v27, v14, s1
	v_lshlrev_b64 v[13:14], 2, v[15:16]
	v_mov_b32_e32 v18, v8
	v_mov_b32_e32 v8, v24
	v_mad_u64_u32 v[15:16], null, s16, v6, 0
	v_mad_u64_u32 v[25:26], null, s16, v5, 0
	;; [unrolled: 1-line block ×3, first 2 shown]
	v_add_co_u32 v13, s1, v22, v13
	v_mov_b32_e32 v2, v16
	v_lshlrev_b64 v[16:17], 2, v[17:18]
	v_add_co_ci_u32_e64 v14, s1, v27, v14, s1
	v_mov_b32_e32 v24, v7
	v_mad_u64_u32 v[6:7], null, s17, v6, v[2:3]
	v_mov_b32_e32 v2, v26
	v_mov_b32_e32 v21, v9
	v_add_co_u32 v7, s1, v22, v16
	v_add_co_ci_u32_e64 v8, s1, v27, v17, s1
	v_mad_u64_u32 v[17:18], null, s17, v5, v[2:3]
	v_lshlrev_b64 v[9:10], 2, v[20:21]
	v_mov_b32_e32 v16, v6
	v_lshlrev_b64 v[18:19], 2, v[23:24]
	v_add_co_u32 v5, s1, v22, v9
	v_mov_b32_e32 v26, v17
	v_add_co_ci_u32_e64 v6, s1, v27, v10, s1
	v_lshlrev_b64 v[9:10], 2, v[15:16]
	v_add_co_u32 v17, s1, v22, v18
	v_lshlrev_b64 v[15:16], 2, v[25:26]
	v_add_co_ci_u32_e64 v18, s1, v27, v19, s1
	v_add_co_u32 v9, s1, v22, v9
	v_add_co_ci_u32_e64 v10, s1, v27, v10, s1
	v_add_co_u32 v20, s1, v22, v15
	v_add_co_ci_u32_e64 v21, s1, v27, v16, s1
	s_clause 0x6
	global_load_dword v11, v[11:12], off
	global_load_dword v12, v[13:14], off
	;; [unrolled: 1-line block ×7, first 2 shown]
.LBB0_18:
	s_or_b32 exec_lo, exec_lo, s8
	s_waitcnt vmcnt(0)
	v_add_f16_e32 v2, v12, v18
	v_add_f16_e32 v5, v15, v19
	v_sub_f16_sdwa v6, v12, v18 dst_sel:DWORD dst_unused:UNUSED_PAD src0_sel:WORD_1 src1_sel:WORD_1
	v_add_f16_e32 v7, v16, v17
	v_sub_f16_sdwa v8, v15, v19 dst_sel:DWORD dst_unused:UNUSED_PAD src0_sel:WORD_1 src1_sel:WORD_1
	v_sub_f16_sdwa v9, v17, v16 dst_sel:DWORD dst_unused:UNUSED_PAD src0_sel:WORD_1 src1_sel:WORD_1
	v_add_f16_e32 v10, v2, v5
	v_sub_f16_e32 v13, v5, v2
	v_sub_f16_e32 v14, v2, v7
	;; [unrolled: 1-line block ×3, first 2 shown]
	v_add_f16_e32 v2, v9, v8
	v_add_f16_e32 v7, v7, v10
	v_sub_f16_e32 v10, v9, v8
	v_sub_f16_e32 v8, v8, v6
	;; [unrolled: 1-line block ×3, first 2 shown]
	v_add_f16_e32 v6, v6, v2
	v_add_f16_e32 v2, v11, v7
	v_mul_f16_e32 v5, 0x2b26, v5
	v_mul_f16_e32 v20, 0x3a52, v14
	;; [unrolled: 1-line block ×4, first 2 shown]
	v_fmamk_f16 v7, v7, 0xbcab, v2
	v_fmamk_f16 v14, v14, 0x3a52, v5
	v_fma_f16 v22, v13, 0x39e0, -v5
	v_fma_f16 v13, v13, 0xb9e0, -v20
	v_fmamk_f16 v5, v9, 0xb574, v10
	v_fma_f16 v8, v8, 0xbb00, -v10
	v_fma_f16 v20, v9, 0x3574, -v21
	v_add_f16_e32 v9, v14, v7
	v_add_f16_e32 v14, v22, v7
	;; [unrolled: 1-line block ×3, first 2 shown]
	v_fmac_f16_e32 v5, 0xb70e, v6
	v_fmac_f16_e32 v20, 0xb70e, v6
	;; [unrolled: 1-line block ×3, first 2 shown]
	v_add_f16_e32 v10, v5, v9
	v_add_f16_e32 v7, v20, v21
	v_sub_f16_e32 v13, v14, v8
	v_add_f16_e32 v6, v8, v14
	v_sub_f16_e32 v14, v21, v20
	v_mul_u32_u24_e32 v20, 0x54, v4
	v_lshlrev_b32_e32 v8, 1, v3
	s_and_saveexec_b32 s1, s0
	s_cbranch_execz .LBB0_20
; %bb.19:
	v_add3_u32 v21, 0, v20, v8
	v_sub_f16_e32 v5, v9, v5
	ds_write_b16 v21, v2
	ds_write_b16 v21, v10 offset:12
	ds_write_b16 v21, v7 offset:24
	;; [unrolled: 1-line block ×6, first 2 shown]
.LBB0_20:
	s_or_b32 exec_lo, exec_lo, s1
	v_cmp_gt_u32_e64 s1, 0xa8, v0
	v_mul_u32_u24_e32 v5, 12, v4
	s_waitcnt lgkmcnt(0)
	s_barrier
	buffer_gl0_inv
	s_and_saveexec_b32 s8, s1
	s_cbranch_execz .LBB0_22
; %bb.21:
	v_add3_u32 v9, 0, v5, v8
	ds_read_u16 v2, v9
	ds_read_u16 v10, v9 offset:336
	ds_read_u16 v7, v9 offset:672
	;; [unrolled: 1-line block ×5, first 2 shown]
.LBB0_22:
	s_or_b32 exec_lo, exec_lo, s8
	v_add_f16_sdwa v9, v12, v18 dst_sel:DWORD dst_unused:UNUSED_PAD src0_sel:WORD_1 src1_sel:WORD_1
	v_add_f16_sdwa v21, v15, v19 dst_sel:DWORD dst_unused:UNUSED_PAD src0_sel:WORD_1 src1_sel:WORD_1
	;; [unrolled: 1-line block ×3, first 2 shown]
	v_sub_f16_e32 v15, v15, v19
	v_sub_f16_e32 v16, v17, v16
	s_waitcnt lgkmcnt(0)
	v_add_f16_e32 v17, v9, v21
	v_sub_f16_e32 v19, v21, v9
	v_sub_f16_e32 v23, v9, v22
	;; [unrolled: 1-line block ×4, first 2 shown]
	v_add_f16_e32 v18, v16, v15
	v_add_f16_e32 v17, v22, v17
	v_sub_f16_e32 v21, v16, v15
	v_sub_f16_e32 v15, v15, v9
	;; [unrolled: 1-line block ×3, first 2 shown]
	v_add_f16_e32 v18, v9, v18
	v_add_f16_sdwa v9, v11, v17 dst_sel:DWORD dst_unused:UNUSED_PAD src0_sel:WORD_1 src1_sel:DWORD
	v_mul_f16_e32 v11, 0x2b26, v12
	v_mul_f16_e32 v12, 0x3a52, v23
	;; [unrolled: 1-line block ×4, first 2 shown]
	v_fmamk_f16 v17, v17, 0xbcab, v9
	v_fmamk_f16 v23, v23, 0x3a52, v11
	v_fma_f16 v24, v19, 0x39e0, -v11
	v_fma_f16 v19, v19, 0xb9e0, -v12
	v_fmamk_f16 v11, v16, 0xb574, v21
	v_fma_f16 v15, v15, 0xbb00, -v21
	v_fma_f16 v21, v16, 0x3574, -v22
	v_add_f16_e32 v12, v23, v17
	v_add_f16_e32 v22, v24, v17
	;; [unrolled: 1-line block ×3, first 2 shown]
	v_fmac_f16_e32 v11, 0xb70e, v18
	v_fmac_f16_e32 v21, 0xb70e, v18
	;; [unrolled: 1-line block ×3, first 2 shown]
	s_barrier
	buffer_gl0_inv
	v_sub_f16_e32 v16, v12, v11
	v_sub_f16_e32 v17, v23, v21
	v_add_f16_e32 v19, v15, v22
	v_sub_f16_e32 v18, v22, v15
	v_add_f16_e32 v21, v21, v23
	s_and_saveexec_b32 s8, s0
	s_cbranch_execz .LBB0_24
; %bb.23:
	v_add3_u32 v15, 0, v20, v8
	v_add_f16_e32 v11, v11, v12
	ds_write_b16 v15, v9
	ds_write_b16 v15, v16 offset:12
	ds_write_b16 v15, v17 offset:24
	;; [unrolled: 1-line block ×6, first 2 shown]
.LBB0_24:
	s_or_b32 exec_lo, exec_lo, s8
	s_waitcnt lgkmcnt(0)
	s_barrier
	buffer_gl0_inv
	s_and_saveexec_b32 s0, s1
	s_cbranch_execz .LBB0_26
; %bb.25:
	v_add3_u32 v11, 0, v5, v8
	ds_read_u16 v9, v11
	ds_read_u16 v16, v11 offset:336
	ds_read_u16 v17, v11 offset:672
	ds_read_u16 v19, v11 offset:1008
	ds_read_u16 v18, v11 offset:1344
	ds_read_u16 v21, v11 offset:1680
.LBB0_26:
	s_or_b32 exec_lo, exec_lo, s0
	v_mul_hi_u32 v11, 0x24924925, v4
	v_mul_u32_u24_e32 v11, 7, v11
	v_sub_nc_u32_e32 v11, v4, v11
	v_mul_u32_u24_e32 v12, 5, v11
	v_lshlrev_b32_e32 v12, 2, v12
	s_clause 0x1
	global_load_dwordx4 v[27:30], v12, s[4:5]
	global_load_dword v20, v12, s[4:5] offset:16
	s_waitcnt vmcnt(0) lgkmcnt(0)
	s_barrier
	buffer_gl0_inv
	v_mul_f16_sdwa v26, v19, v29 dst_sel:DWORD dst_unused:UNUSED_PAD src0_sel:DWORD src1_sel:WORD_1
	v_mul_f16_sdwa v31, v13, v29 dst_sel:DWORD dst_unused:UNUSED_PAD src0_sel:DWORD src1_sel:WORD_1
	;; [unrolled: 1-line block ×7, first 2 shown]
	v_fmac_f16_e32 v26, v13, v29
	v_fmac_f16_e32 v25, v14, v20
	v_fma_f16 v14, v19, v29, -v31
	v_fma_f16 v13, v21, v20, -v32
	v_mul_f16_sdwa v23, v7, v28 dst_sel:DWORD dst_unused:UNUSED_PAD src0_sel:DWORD src1_sel:WORD_1
	v_fmac_f16_e32 v24, v10, v27
	v_fma_f16 v16, v16, v27, -v22
	v_add_f16_e32 v10, v26, v25
	v_fmac_f16_e32 v12, v7, v28
	v_add_f16_e32 v7, v14, v13
	v_mul_f16_sdwa v15, v18, v30 dst_sel:DWORD dst_unused:UNUSED_PAD src0_sel:DWORD src1_sel:WORD_1
	v_mul_f16_sdwa v33, v6, v30 dst_sel:DWORD dst_unused:UNUSED_PAD src0_sel:DWORD src1_sel:WORD_1
	v_fma_f16 v19, v17, v28, -v23
	v_sub_f16_e32 v22, v14, v13
	v_fma_f16 v17, -0.5, v10, v24
	v_sub_f16_e32 v10, v26, v25
	v_fma_f16 v20, -0.5, v7, v16
	v_fmac_f16_e32 v15, v6, v30
	v_fma_f16 v21, v18, v30, -v33
	v_fmamk_f16 v18, v22, 0xbaee, v17
	v_fmac_f16_e32 v17, 0x3aee, v22
	v_fmamk_f16 v22, v10, 0x3aee, v20
	v_fmac_f16_e32 v20, 0xbaee, v10
	v_mul_lo_u16 v23, v4, 37
	s_and_saveexec_b32 s0, s1
	s_cbranch_execz .LBB0_28
; %bb.27:
	v_mov_b32_e32 v6, 0xffff
	v_add_f16_e32 v7, v12, v15
	v_add_f16_e32 v29, v2, v12
	;; [unrolled: 1-line block ×3, first 2 shown]
	v_sub_f16_e32 v10, v19, v21
	v_and_b32_sdwa v6, v6, v23 dst_sel:DWORD dst_unused:UNUSED_PAD src0_sel:DWORD src1_sel:BYTE_1
	v_mul_f16_e32 v28, 0xbaee, v22
	v_fma_f16 v2, -0.5, v7, v2
	v_mul_f16_e32 v27, 0xbaee, v20
	v_add_f16_e32 v7, v29, v15
	v_mad_u32_u24 v6, v6, 42, v11
	v_add_f16_e32 v24, v24, v25
	v_fmac_f16_e32 v28, 0.5, v18
	v_fmamk_f16 v25, v10, 0x3aee, v2
	v_fmac_f16_e32 v2, 0xbaee, v10
	v_mul_i32_i24_e32 v6, 12, v6
	v_fmac_f16_e32 v27, -0.5, v17
	v_sub_f16_e32 v10, v7, v24
	v_add_f16_e32 v7, v7, v24
	v_add_f16_e32 v24, v2, v28
	v_add3_u32 v6, 0, v6, v8
	v_add_f16_e32 v26, v25, v27
	v_sub_f16_e32 v2, v2, v28
	v_sub_f16_e32 v25, v25, v27
	ds_write_b16 v6, v7
	ds_write_b16 v6, v24 offset:84
	ds_write_b16 v6, v26 offset:168
	;; [unrolled: 1-line block ×5, first 2 shown]
.LBB0_28:
	s_or_b32 exec_lo, exec_lo, s0
	v_add3_u32 v10, 0, v5, v8
	s_waitcnt lgkmcnt(0)
	s_barrier
	buffer_gl0_inv
	ds_read_u16 v2, v10
	ds_read_u16 v6, v10 offset:504
	ds_read_u16 v5, v10 offset:1008
	;; [unrolled: 1-line block ×3, first 2 shown]
	s_waitcnt lgkmcnt(0)
	s_barrier
	buffer_gl0_inv
	s_and_saveexec_b32 s0, s1
	s_cbranch_execz .LBB0_30
; %bb.29:
	v_mov_b32_e32 v24, 0xffff
	v_sub_f16_e32 v12, v12, v15
	v_add_f16_e32 v25, v9, v19
	v_add_f16_e32 v19, v19, v21
	;; [unrolled: 1-line block ×3, first 2 shown]
	v_and_b32_sdwa v15, v24, v23 dst_sel:DWORD dst_unused:UNUSED_PAD src0_sel:DWORD src1_sel:BYTE_1
	v_mul_f16_e32 v16, 0.5, v22
	v_mul_f16_e32 v20, -0.5, v20
	v_fmac_f16_e32 v9, -0.5, v19
	v_add_f16_e32 v21, v25, v21
	v_mad_u32_u24 v11, v15, 42, v11
	v_add_f16_e32 v13, v14, v13
	v_fmac_f16_e32 v16, 0x3aee, v18
	v_fmamk_f16 v14, v12, 0x3aee, v9
	v_fmac_f16_e32 v20, 0x3aee, v17
	v_mul_i32_i24_e32 v11, 12, v11
	v_fmamk_f16 v9, v12, 0xbaee, v9
	v_add_f16_e32 v12, v21, v13
	v_sub_f16_e32 v13, v21, v13
	v_add3_u32 v8, 0, v11, v8
	v_add_f16_e32 v11, v14, v16
	v_add_f16_e32 v15, v9, v20
	v_sub_f16_e32 v14, v14, v16
	v_sub_f16_e32 v9, v9, v20
	ds_write_b16 v8, v12
	ds_write_b16 v8, v11 offset:84
	ds_write_b16 v8, v15 offset:168
	;; [unrolled: 1-line block ×5, first 2 shown]
.LBB0_30:
	s_or_b32 exec_lo, exec_lo, s0
	s_or_b32 s0, s10, vcc_lo
	s_waitcnt lgkmcnt(0)
	s_barrier
	buffer_gl0_inv
	s_and_saveexec_b32 s1, s0
	s_cbranch_execz .LBB0_32
; %bb.31:
	v_mul_hi_u32 v8, 0x6186187, v4
	v_mul_hi_u32 v0, 0x1041042, v0
	v_mul_lo_u32 v18, 0xffffffd6, v1
	s_lshl_b64 s[0:1], s[6:7], 2
	v_mul_u32_u24_e32 v8, 42, v8
	v_sub_nc_u32_e32 v14, v4, v8
	v_mad_u64_u32 v[8:9], null, s18, v3, 0
	v_mul_u32_u24_e32 v4, 3, v14
	v_mad_u32_u24 v19, 0xa8, v0, v14
	v_lshlrev_b32_e32 v4, 2, v4
	v_add_nc_u32_e32 v24, 42, v19
	v_add_nc_u32_e32 v25, 0x54, v19
	;; [unrolled: 1-line block ×3, first 2 shown]
	global_load_dwordx3 v[11:13], v4, s[4:5] offset:140
	v_mov_b32_e32 v4, v9
	ds_read_u16 v21, v10
	ds_read_u16 v22, v10 offset:1512
	ds_read_u16 v23, v10 offset:1008
	;; [unrolled: 1-line block ×3, first 2 shown]
	v_mad_u64_u32 v[16:17], null, s16, v26, 0
	v_mad_u64_u32 v[3:4], null, s19, v3, v[4:5]
	v_add_nc_u32_e32 v4, 0x7e, v14
	v_mul_lo_u32 v14, v14, v1
	s_add_i32 s4, 0, 0x7e0
	s_add_u32 s0, s2, s0
	s_addc_u32 s1, s3, s1
	v_mul_lo_u32 v20, v4, v1
	v_mov_b32_e32 v9, v3
	v_mad_u64_u32 v[0:1], null, s16, v19, 0
	v_lshrrev_b32_e32 v27, 8, v14
	v_and_b32_e32 v28, 31, v14
	v_lshlrev_b64 v[3:4], 2, v[8:9]
	v_mad_u64_u32 v[8:9], null, s16, v24, 0
	v_lshrrev_b32_e32 v29, 3, v14
	v_mad_u64_u32 v[14:15], null, s16, v25, 0
	v_lshrrev_b32_e32 v30, 8, v20
	v_and_b32_e32 v31, 31, v20
	v_lshrrev_b32_e32 v32, 3, v20
	v_add_nc_u32_e32 v20, v20, v18
	v_add_co_u32 v33, vcc_lo, s0, v3
	v_add_co_ci_u32_e32 v34, vcc_lo, s1, v4, vcc_lo
	v_lshrrev_b32_e32 v35, 8, v20
	v_and_b32_e32 v36, 31, v20
	v_lshrrev_b32_e32 v37, 3, v20
	v_add_nc_u32_e32 v18, v20, v18
	v_mad_u64_u32 v[3:4], null, s17, v19, v[1:2]
	v_mov_b32_e32 v1, v9
	v_mov_b32_e32 v4, v15
	;; [unrolled: 1-line block ×3, first 2 shown]
	v_and_b32_e32 v30, 0x7c, v30
	v_and_b32_e32 v15, 0x7c, v35
	v_lshl_add_u32 v35, v36, 2, 0
	v_and_b32_e32 v36, 0x7c, v37
	v_lshrrev_b32_e32 v37, 8, v18
	v_and_b32_e32 v38, 31, v18
	v_lshrrev_b32_e32 v39, 3, v18
	v_mad_u64_u32 v[17:18], null, s17, v24, v[1:2]
	v_mad_u64_u32 v[18:19], null, s17, v25, v[4:5]
	v_and_b32_e32 v32, 0x7c, v32
	s_waitcnt lgkmcnt(0)
	v_mad_u64_u32 v[19:20], null, s17, v26, v[9:10]
	v_add_nc_u32_e32 v30, s4, v30
	v_lshl_add_u32 v31, v31, 2, 0
	v_add_nc_u32_e32 v32, s4, v32
	v_mov_b32_e32 v1, v3
	v_add_nc_u32_e32 v3, s4, v15
	v_add_nc_u32_e32 v4, s4, v36
	v_mov_b32_e32 v9, v17
	v_mov_b32_e32 v15, v18
	;; [unrolled: 1-line block ×3, first 2 shown]
	ds_read_b32 v18, v30 offset:256
	ds_read_b32 v19, v31 offset:2016
	;; [unrolled: 1-line block ×6, first 2 shown]
	v_and_b32_e32 v20, 0x7c, v37
	v_and_b32_e32 v25, 0x7c, v39
	;; [unrolled: 1-line block ×4, first 2 shown]
	v_lshl_add_u32 v24, v38, 2, 0
	v_add_nc_u32_e32 v20, s4, v20
	v_add_nc_u32_e32 v25, s4, v25
	;; [unrolled: 1-line block ×3, first 2 shown]
	v_lshl_add_u32 v28, v28, 2, 0
	v_add_nc_u32_e32 v29, s4, v29
	v_lshlrev_b64 v[3:4], 2, v[8:9]
	v_lshlrev_b64 v[8:9], 2, v[14:15]
	;; [unrolled: 1-line block ×3, first 2 shown]
	ds_read_b32 v16, v20 offset:256
	ds_read_b32 v17, v24 offset:2016
	;; [unrolled: 1-line block ×6, first 2 shown]
	v_lshlrev_b64 v[0:1], 2, v[0:1]
	s_waitcnt lgkmcnt(10)
	v_lshrrev_b32_e32 v28, 16, v19
	s_waitcnt lgkmcnt(9)
	v_mul_f16_sdwa v29, v19, v26 dst_sel:DWORD dst_unused:UNUSED_PAD src0_sel:DWORD src1_sel:WORD_1
	s_waitcnt lgkmcnt(6)
	v_mul_f16_sdwa v36, v31, v32 dst_sel:DWORD dst_unused:UNUSED_PAD src0_sel:DWORD src1_sel:WORD_1
	v_mul_f16_sdwa v35, v28, v26 dst_sel:DWORD dst_unused:UNUSED_PAD src0_sel:DWORD src1_sel:WORD_1
	v_fmac_f16_e32 v29, v28, v26
	v_lshrrev_b32_e32 v28, 16, v31
	v_add_co_u32 v0, vcc_lo, v33, v0
	v_fma_f16 v19, v19, v26, -v35
	v_mul_f16_sdwa v26, v29, v18 dst_sel:DWORD dst_unused:UNUSED_PAD src0_sel:DWORD src1_sel:WORD_1
	v_mul_f16_sdwa v35, v28, v32 dst_sel:DWORD dst_unused:UNUSED_PAD src0_sel:DWORD src1_sel:WORD_1
	v_fmac_f16_e32 v36, v28, v32
	s_waitcnt lgkmcnt(4)
	v_lshrrev_b32_e32 v28, 16, v17
	s_waitcnt lgkmcnt(3)
	v_mul_f16_sdwa v37, v17, v20 dst_sel:DWORD dst_unused:UNUSED_PAD src0_sel:DWORD src1_sel:WORD_1
	v_fma_f16 v26, v18, v19, -v26
	s_waitcnt lgkmcnt(1)
	v_lshrrev_b32_e32 v38, 16, v25
	v_mul_f16_sdwa v19, v19, v18 dst_sel:DWORD dst_unused:UNUSED_PAD src0_sel:DWORD src1_sel:WORD_1
	v_fma_f16 v31, v31, v32, -v35
	v_mul_f16_sdwa v32, v36, v30 dst_sel:DWORD dst_unused:UNUSED_PAD src0_sel:DWORD src1_sel:WORD_1
	v_mul_f16_sdwa v35, v28, v20 dst_sel:DWORD dst_unused:UNUSED_PAD src0_sel:DWORD src1_sel:WORD_1
	v_fmac_f16_e32 v37, v28, v20
	s_waitcnt lgkmcnt(0)
	v_mul_f16_sdwa v28, v38, v27 dst_sel:DWORD dst_unused:UNUSED_PAD src0_sel:DWORD src1_sel:WORD_1
	v_fmac_f16_e32 v19, v18, v29
	v_mul_f16_sdwa v18, v31, v30 dst_sel:DWORD dst_unused:UNUSED_PAD src0_sel:DWORD src1_sel:WORD_1
	v_mul_f16_sdwa v39, v25, v27 dst_sel:DWORD dst_unused:UNUSED_PAD src0_sel:DWORD src1_sel:WORD_1
	v_fma_f16 v17, v17, v20, -v35
	v_fma_f16 v29, v30, v31, -v32
	;; [unrolled: 1-line block ×3, first 2 shown]
	v_fmac_f16_e32 v18, v30, v36
	v_mul_f16_sdwa v20, v37, v16 dst_sel:DWORD dst_unused:UNUSED_PAD src0_sel:DWORD src1_sel:WORD_1
	v_fmac_f16_e32 v39, v38, v27
	v_add_co_ci_u32_e32 v1, vcc_lo, v34, v1, vcc_lo
	v_add_co_u32 v3, vcc_lo, v33, v3
	v_fma_f16 v20, v16, v17, -v20
	v_mul_f16_sdwa v27, v39, v24 dst_sel:DWORD dst_unused:UNUSED_PAD src0_sel:DWORD src1_sel:WORD_1
	v_add_co_ci_u32_e32 v4, vcc_lo, v34, v4, vcc_lo
	v_add_co_u32 v8, vcc_lo, v33, v8
	v_add_co_ci_u32_e32 v9, vcc_lo, v34, v9, vcc_lo
	s_waitcnt vmcnt(0)
	v_mul_f16_sdwa v28, v5, v12 dst_sel:DWORD dst_unused:UNUSED_PAD src0_sel:DWORD src1_sel:WORD_1
	v_mul_f16_sdwa v30, v10, v11 dst_sel:DWORD dst_unused:UNUSED_PAD src0_sel:DWORD src1_sel:WORD_1
	;; [unrolled: 1-line block ×6, first 2 shown]
	v_fma_f16 v23, v23, v12, -v28
	v_fmac_f16_e32 v30, v6, v11
	v_fmac_f16_e32 v31, v7, v13
	;; [unrolled: 1-line block ×3, first 2 shown]
	v_fma_f16 v5, v10, v11, -v35
	v_fma_f16 v6, v22, v13, -v36
	v_sub_f16_e32 v10, v21, v23
	v_sub_f16_e32 v11, v30, v31
	;; [unrolled: 1-line block ×3, first 2 shown]
	v_mul_f16_sdwa v7, v17, v16 dst_sel:DWORD dst_unused:UNUSED_PAD src0_sel:DWORD src1_sel:WORD_1
	v_sub_f16_e32 v6, v5, v6
	v_fma_f16 v21, v21, 2.0, -v10
	v_mul_f16_sdwa v17, v25, v24 dst_sel:DWORD dst_unused:UNUSED_PAD src0_sel:DWORD src1_sel:WORD_1
	v_fma_f16 v2, v2, 2.0, -v12
	v_fmac_f16_e32 v7, v16, v37
	v_add_f16_e32 v22, v12, v6
	v_fma_f16 v5, v5, 2.0, -v6
	v_fma_f16 v6, v30, 2.0, -v11
	v_sub_f16_e32 v16, v10, v11
	v_fmac_f16_e32 v17, v24, v39
	v_mul_f16_e32 v11, v22, v19
	v_sub_f16_e32 v5, v21, v5
	v_sub_f16_e32 v6, v2, v6
	v_mul_f16_e32 v19, v16, v19
	v_fma_f16 v10, v10, 2.0, -v16
	v_fma_f16 v12, v12, 2.0, -v22
	v_fma_f16 v11, v16, v26, -v11
	v_mul_f16_e32 v16, v6, v18
	v_fma_f16 v2, v2, 2.0, -v6
	v_fma_f16 v21, v21, 2.0, -v5
	v_fma_f16 v13, v24, v25, -v27
	v_fmac_f16_e32 v19, v22, v26
	v_mul_f16_e32 v18, v5, v18
	v_mul_f16_e32 v22, v12, v7
	;; [unrolled: 1-line block ×3, first 2 shown]
	v_fma_f16 v16, v5, v29, -v16
	v_mul_f16_e32 v5, v2, v17
	v_mul_f16_e32 v17, v21, v17
	v_fma_f16 v10, v10, v20, -v22
	v_fmac_f16_e32 v7, v12, v20
	v_fmac_f16_e32 v18, v6, v29
	v_fma_f16 v12, v21, v13, -v5
	v_fmac_f16_e32 v17, v2, v13
	v_add_co_u32 v5, vcc_lo, v33, v14
	v_pack_b32_f16 v7, v7, v10
	v_pack_b32_f16 v10, v18, v16
	;; [unrolled: 1-line block ×3, first 2 shown]
	v_add_co_ci_u32_e32 v6, vcc_lo, v34, v15, vcc_lo
	v_pack_b32_f16 v11, v19, v11
	global_store_dword v[0:1], v2, off
	global_store_dword v[3:4], v7, off
	;; [unrolled: 1-line block ×4, first 2 shown]
.LBB0_32:
	s_endpgm
	.section	.rodata,"a",@progbits
	.p2align	6, 0x0
	.amdhsa_kernel fft_rtc_back_len168_factors_7_6_4_wgs_252_tpt_42_halfLds_half_ip_CI_sbcc_twdbase5_3step_dirReg
		.amdhsa_group_segment_fixed_size 0
		.amdhsa_private_segment_fixed_size 0
		.amdhsa_kernarg_size 96
		.amdhsa_user_sgpr_count 6
		.amdhsa_user_sgpr_private_segment_buffer 1
		.amdhsa_user_sgpr_dispatch_ptr 0
		.amdhsa_user_sgpr_queue_ptr 0
		.amdhsa_user_sgpr_kernarg_segment_ptr 1
		.amdhsa_user_sgpr_dispatch_id 0
		.amdhsa_user_sgpr_flat_scratch_init 0
		.amdhsa_user_sgpr_private_segment_size 0
		.amdhsa_wavefront_size32 1
		.amdhsa_uses_dynamic_stack 0
		.amdhsa_system_sgpr_private_segment_wavefront_offset 0
		.amdhsa_system_sgpr_workgroup_id_x 1
		.amdhsa_system_sgpr_workgroup_id_y 0
		.amdhsa_system_sgpr_workgroup_id_z 0
		.amdhsa_system_sgpr_workgroup_info 0
		.amdhsa_system_vgpr_workitem_id 0
		.amdhsa_next_free_vgpr 40
		.amdhsa_next_free_sgpr 44
		.amdhsa_reserve_vcc 1
		.amdhsa_reserve_flat_scratch 0
		.amdhsa_float_round_mode_32 0
		.amdhsa_float_round_mode_16_64 0
		.amdhsa_float_denorm_mode_32 3
		.amdhsa_float_denorm_mode_16_64 3
		.amdhsa_dx10_clamp 1
		.amdhsa_ieee_mode 1
		.amdhsa_fp16_overflow 0
		.amdhsa_workgroup_processor_mode 1
		.amdhsa_memory_ordered 1
		.amdhsa_forward_progress 0
		.amdhsa_shared_vgpr_count 0
		.amdhsa_exception_fp_ieee_invalid_op 0
		.amdhsa_exception_fp_denorm_src 0
		.amdhsa_exception_fp_ieee_div_zero 0
		.amdhsa_exception_fp_ieee_overflow 0
		.amdhsa_exception_fp_ieee_underflow 0
		.amdhsa_exception_fp_ieee_inexact 0
		.amdhsa_exception_int_div_zero 0
	.end_amdhsa_kernel
	.text
.Lfunc_end0:
	.size	fft_rtc_back_len168_factors_7_6_4_wgs_252_tpt_42_halfLds_half_ip_CI_sbcc_twdbase5_3step_dirReg, .Lfunc_end0-fft_rtc_back_len168_factors_7_6_4_wgs_252_tpt_42_halfLds_half_ip_CI_sbcc_twdbase5_3step_dirReg
                                        ; -- End function
	.section	.AMDGPU.csdata,"",@progbits
; Kernel info:
; codeLenInByte = 5468
; NumSgprs: 46
; NumVgprs: 40
; ScratchSize: 0
; MemoryBound: 0
; FloatMode: 240
; IeeeMode: 1
; LDSByteSize: 0 bytes/workgroup (compile time only)
; SGPRBlocks: 5
; VGPRBlocks: 4
; NumSGPRsForWavesPerEU: 46
; NumVGPRsForWavesPerEU: 40
; Occupancy: 16
; WaveLimiterHint : 1
; COMPUTE_PGM_RSRC2:SCRATCH_EN: 0
; COMPUTE_PGM_RSRC2:USER_SGPR: 6
; COMPUTE_PGM_RSRC2:TRAP_HANDLER: 0
; COMPUTE_PGM_RSRC2:TGID_X_EN: 1
; COMPUTE_PGM_RSRC2:TGID_Y_EN: 0
; COMPUTE_PGM_RSRC2:TGID_Z_EN: 0
; COMPUTE_PGM_RSRC2:TIDIG_COMP_CNT: 0
	.text
	.p2alignl 6, 3214868480
	.fill 48, 4, 3214868480
	.type	__hip_cuid_e72d83f30b2044f1,@object ; @__hip_cuid_e72d83f30b2044f1
	.section	.bss,"aw",@nobits
	.globl	__hip_cuid_e72d83f30b2044f1
__hip_cuid_e72d83f30b2044f1:
	.byte	0                               ; 0x0
	.size	__hip_cuid_e72d83f30b2044f1, 1

	.ident	"AMD clang version 19.0.0git (https://github.com/RadeonOpenCompute/llvm-project roc-6.4.0 25133 c7fe45cf4b819c5991fe208aaa96edf142730f1d)"
	.section	".note.GNU-stack","",@progbits
	.addrsig
	.addrsig_sym __hip_cuid_e72d83f30b2044f1
	.amdgpu_metadata
---
amdhsa.kernels:
  - .args:
      - .actual_access:  read_only
        .address_space:  global
        .offset:         0
        .size:           8
        .value_kind:     global_buffer
      - .address_space:  global
        .offset:         8
        .size:           8
        .value_kind:     global_buffer
      - .offset:         16
        .size:           8
        .value_kind:     by_value
      - .actual_access:  read_only
        .address_space:  global
        .offset:         24
        .size:           8
        .value_kind:     global_buffer
      - .actual_access:  read_only
        .address_space:  global
        .offset:         32
        .size:           8
        .value_kind:     global_buffer
      - .offset:         40
        .size:           8
        .value_kind:     by_value
      - .actual_access:  read_only
        .address_space:  global
        .offset:         48
        .size:           8
        .value_kind:     global_buffer
      - .actual_access:  read_only
        .address_space:  global
        .offset:         56
        .size:           8
        .value_kind:     global_buffer
      - .offset:         64
        .size:           4
        .value_kind:     by_value
      - .actual_access:  read_only
        .address_space:  global
        .offset:         72
        .size:           8
        .value_kind:     global_buffer
      - .actual_access:  read_only
        .address_space:  global
        .offset:         80
        .size:           8
        .value_kind:     global_buffer
      - .address_space:  global
        .offset:         88
        .size:           8
        .value_kind:     global_buffer
    .group_segment_fixed_size: 0
    .kernarg_segment_align: 8
    .kernarg_segment_size: 96
    .language:       OpenCL C
    .language_version:
      - 2
      - 0
    .max_flat_workgroup_size: 252
    .name:           fft_rtc_back_len168_factors_7_6_4_wgs_252_tpt_42_halfLds_half_ip_CI_sbcc_twdbase5_3step_dirReg
    .private_segment_fixed_size: 0
    .sgpr_count:     46
    .sgpr_spill_count: 0
    .symbol:         fft_rtc_back_len168_factors_7_6_4_wgs_252_tpt_42_halfLds_half_ip_CI_sbcc_twdbase5_3step_dirReg.kd
    .uniform_work_group_size: 1
    .uses_dynamic_stack: false
    .vgpr_count:     40
    .vgpr_spill_count: 0
    .wavefront_size: 32
    .workgroup_processor_mode: 1
amdhsa.target:   amdgcn-amd-amdhsa--gfx1030
amdhsa.version:
  - 1
  - 2
...

	.end_amdgpu_metadata
